;; amdgpu-corpus repo=ROCm/rocFFT kind=compiled arch=gfx1030 opt=O3
	.text
	.amdgcn_target "amdgcn-amd-amdhsa--gfx1030"
	.amdhsa_code_object_version 6
	.protected	fft_rtc_back_len924_factors_2_2_3_7_11_wgs_44_tpt_44_halfLds_half_ip_CI_unitstride_sbrr_dirReg ; -- Begin function fft_rtc_back_len924_factors_2_2_3_7_11_wgs_44_tpt_44_halfLds_half_ip_CI_unitstride_sbrr_dirReg
	.globl	fft_rtc_back_len924_factors_2_2_3_7_11_wgs_44_tpt_44_halfLds_half_ip_CI_unitstride_sbrr_dirReg
	.p2align	8
	.type	fft_rtc_back_len924_factors_2_2_3_7_11_wgs_44_tpt_44_halfLds_half_ip_CI_unitstride_sbrr_dirReg,@function
fft_rtc_back_len924_factors_2_2_3_7_11_wgs_44_tpt_44_halfLds_half_ip_CI_unitstride_sbrr_dirReg: ; @fft_rtc_back_len924_factors_2_2_3_7_11_wgs_44_tpt_44_halfLds_half_ip_CI_unitstride_sbrr_dirReg
; %bb.0:
	s_clause 0x2
	s_load_dwordx4 s[8:11], s[4:5], 0x0
	s_load_dwordx2 s[2:3], s[4:5], 0x50
	s_load_dwordx2 s[12:13], s[4:5], 0x18
	v_mul_u32_u24_e32 v1, 0x5d2, v0
	v_mov_b32_e32 v3, 0
	v_add_nc_u32_sdwa v5, s6, v1 dst_sel:DWORD dst_unused:UNUSED_PAD src0_sel:DWORD src1_sel:WORD_1
	v_mov_b32_e32 v1, 0
	v_mov_b32_e32 v6, v3
	v_mov_b32_e32 v2, 0
	s_waitcnt lgkmcnt(0)
	v_cmp_lt_u64_e64 s0, s[10:11], 2
	s_and_b32 vcc_lo, exec_lo, s0
	s_cbranch_vccnz .LBB0_8
; %bb.1:
	s_load_dwordx2 s[0:1], s[4:5], 0x10
	v_mov_b32_e32 v1, 0
	s_add_u32 s6, s12, 8
	v_mov_b32_e32 v2, 0
	s_addc_u32 s7, s13, 0
	s_mov_b64 s[16:17], 1
	s_waitcnt lgkmcnt(0)
	s_add_u32 s14, s0, 8
	s_addc_u32 s15, s1, 0
.LBB0_2:                                ; =>This Inner Loop Header: Depth=1
	s_load_dwordx2 s[18:19], s[14:15], 0x0
                                        ; implicit-def: $vgpr7_vgpr8
	s_mov_b32 s0, exec_lo
	s_waitcnt lgkmcnt(0)
	v_or_b32_e32 v4, s19, v6
	v_cmpx_ne_u64_e32 0, v[3:4]
	s_xor_b32 s1, exec_lo, s0
	s_cbranch_execz .LBB0_4
; %bb.3:                                ;   in Loop: Header=BB0_2 Depth=1
	v_cvt_f32_u32_e32 v4, s18
	v_cvt_f32_u32_e32 v7, s19
	s_sub_u32 s0, 0, s18
	s_subb_u32 s20, 0, s19
	v_fmac_f32_e32 v4, 0x4f800000, v7
	v_rcp_f32_e32 v4, v4
	v_mul_f32_e32 v4, 0x5f7ffffc, v4
	v_mul_f32_e32 v7, 0x2f800000, v4
	v_trunc_f32_e32 v7, v7
	v_fmac_f32_e32 v4, 0xcf800000, v7
	v_cvt_u32_f32_e32 v7, v7
	v_cvt_u32_f32_e32 v4, v4
	v_mul_lo_u32 v8, s0, v7
	v_mul_hi_u32 v9, s0, v4
	v_mul_lo_u32 v10, s20, v4
	v_add_nc_u32_e32 v8, v9, v8
	v_mul_lo_u32 v9, s0, v4
	v_add_nc_u32_e32 v8, v8, v10
	v_mul_hi_u32 v10, v4, v9
	v_mul_lo_u32 v11, v4, v8
	v_mul_hi_u32 v12, v4, v8
	v_mul_hi_u32 v13, v7, v9
	v_mul_lo_u32 v9, v7, v9
	v_mul_hi_u32 v14, v7, v8
	v_mul_lo_u32 v8, v7, v8
	v_add_co_u32 v10, vcc_lo, v10, v11
	v_add_co_ci_u32_e32 v11, vcc_lo, 0, v12, vcc_lo
	v_add_co_u32 v9, vcc_lo, v10, v9
	v_add_co_ci_u32_e32 v9, vcc_lo, v11, v13, vcc_lo
	v_add_co_ci_u32_e32 v10, vcc_lo, 0, v14, vcc_lo
	v_add_co_u32 v8, vcc_lo, v9, v8
	v_add_co_ci_u32_e32 v9, vcc_lo, 0, v10, vcc_lo
	v_add_co_u32 v4, vcc_lo, v4, v8
	v_add_co_ci_u32_e32 v7, vcc_lo, v7, v9, vcc_lo
	v_mul_hi_u32 v8, s0, v4
	v_mul_lo_u32 v10, s20, v4
	v_mul_lo_u32 v9, s0, v7
	v_add_nc_u32_e32 v8, v8, v9
	v_mul_lo_u32 v9, s0, v4
	v_add_nc_u32_e32 v8, v8, v10
	v_mul_hi_u32 v10, v4, v9
	v_mul_lo_u32 v11, v4, v8
	v_mul_hi_u32 v12, v4, v8
	v_mul_hi_u32 v13, v7, v9
	v_mul_lo_u32 v9, v7, v9
	v_mul_hi_u32 v14, v7, v8
	v_mul_lo_u32 v8, v7, v8
	v_add_co_u32 v10, vcc_lo, v10, v11
	v_add_co_ci_u32_e32 v11, vcc_lo, 0, v12, vcc_lo
	v_add_co_u32 v9, vcc_lo, v10, v9
	v_add_co_ci_u32_e32 v9, vcc_lo, v11, v13, vcc_lo
	v_add_co_ci_u32_e32 v10, vcc_lo, 0, v14, vcc_lo
	v_add_co_u32 v8, vcc_lo, v9, v8
	v_add_co_ci_u32_e32 v9, vcc_lo, 0, v10, vcc_lo
	v_add_co_u32 v4, vcc_lo, v4, v8
	v_add_co_ci_u32_e32 v11, vcc_lo, v7, v9, vcc_lo
	v_mul_hi_u32 v13, v5, v4
	v_mad_u64_u32 v[9:10], null, v6, v4, 0
	v_mad_u64_u32 v[7:8], null, v5, v11, 0
	;; [unrolled: 1-line block ×3, first 2 shown]
	v_add_co_u32 v4, vcc_lo, v13, v7
	v_add_co_ci_u32_e32 v7, vcc_lo, 0, v8, vcc_lo
	v_add_co_u32 v4, vcc_lo, v4, v9
	v_add_co_ci_u32_e32 v4, vcc_lo, v7, v10, vcc_lo
	v_add_co_ci_u32_e32 v7, vcc_lo, 0, v12, vcc_lo
	v_add_co_u32 v4, vcc_lo, v4, v11
	v_add_co_ci_u32_e32 v9, vcc_lo, 0, v7, vcc_lo
	v_mul_lo_u32 v10, s19, v4
	v_mad_u64_u32 v[7:8], null, s18, v4, 0
	v_mul_lo_u32 v11, s18, v9
	v_sub_co_u32 v7, vcc_lo, v5, v7
	v_add3_u32 v8, v8, v11, v10
	v_sub_nc_u32_e32 v10, v6, v8
	v_subrev_co_ci_u32_e64 v10, s0, s19, v10, vcc_lo
	v_add_co_u32 v11, s0, v4, 2
	v_add_co_ci_u32_e64 v12, s0, 0, v9, s0
	v_sub_co_u32 v13, s0, v7, s18
	v_sub_co_ci_u32_e32 v8, vcc_lo, v6, v8, vcc_lo
	v_subrev_co_ci_u32_e64 v10, s0, 0, v10, s0
	v_cmp_le_u32_e32 vcc_lo, s18, v13
	v_cmp_eq_u32_e64 s0, s19, v8
	v_cndmask_b32_e64 v13, 0, -1, vcc_lo
	v_cmp_le_u32_e32 vcc_lo, s19, v10
	v_cndmask_b32_e64 v14, 0, -1, vcc_lo
	v_cmp_le_u32_e32 vcc_lo, s18, v7
	;; [unrolled: 2-line block ×3, first 2 shown]
	v_cndmask_b32_e64 v15, 0, -1, vcc_lo
	v_cmp_eq_u32_e32 vcc_lo, s19, v10
	v_cndmask_b32_e64 v7, v15, v7, s0
	v_cndmask_b32_e32 v10, v14, v13, vcc_lo
	v_add_co_u32 v13, vcc_lo, v4, 1
	v_add_co_ci_u32_e32 v14, vcc_lo, 0, v9, vcc_lo
	v_cmp_ne_u32_e32 vcc_lo, 0, v10
	v_cndmask_b32_e32 v8, v14, v12, vcc_lo
	v_cndmask_b32_e32 v10, v13, v11, vcc_lo
	v_cmp_ne_u32_e32 vcc_lo, 0, v7
	v_cndmask_b32_e32 v8, v9, v8, vcc_lo
	v_cndmask_b32_e32 v7, v4, v10, vcc_lo
.LBB0_4:                                ;   in Loop: Header=BB0_2 Depth=1
	s_andn2_saveexec_b32 s0, s1
	s_cbranch_execz .LBB0_6
; %bb.5:                                ;   in Loop: Header=BB0_2 Depth=1
	v_cvt_f32_u32_e32 v4, s18
	s_sub_i32 s1, 0, s18
	v_rcp_iflag_f32_e32 v4, v4
	v_mul_f32_e32 v4, 0x4f7ffffe, v4
	v_cvt_u32_f32_e32 v4, v4
	v_mul_lo_u32 v7, s1, v4
	v_mul_hi_u32 v7, v4, v7
	v_add_nc_u32_e32 v4, v4, v7
	v_mul_hi_u32 v4, v5, v4
	v_mul_lo_u32 v7, v4, s18
	v_add_nc_u32_e32 v8, 1, v4
	v_sub_nc_u32_e32 v7, v5, v7
	v_subrev_nc_u32_e32 v9, s18, v7
	v_cmp_le_u32_e32 vcc_lo, s18, v7
	v_cndmask_b32_e32 v7, v7, v9, vcc_lo
	v_cndmask_b32_e32 v4, v4, v8, vcc_lo
	v_cmp_le_u32_e32 vcc_lo, s18, v7
	v_add_nc_u32_e32 v8, 1, v4
	v_cndmask_b32_e32 v7, v4, v8, vcc_lo
	v_mov_b32_e32 v8, v3
.LBB0_6:                                ;   in Loop: Header=BB0_2 Depth=1
	s_or_b32 exec_lo, exec_lo, s0
	s_load_dwordx2 s[0:1], s[6:7], 0x0
	v_mul_lo_u32 v4, v8, s18
	v_mul_lo_u32 v11, v7, s19
	v_mad_u64_u32 v[9:10], null, v7, s18, 0
	s_add_u32 s16, s16, 1
	s_addc_u32 s17, s17, 0
	s_add_u32 s6, s6, 8
	s_addc_u32 s7, s7, 0
	;; [unrolled: 2-line block ×3, first 2 shown]
	v_add3_u32 v4, v10, v11, v4
	v_sub_co_u32 v5, vcc_lo, v5, v9
	v_sub_co_ci_u32_e32 v4, vcc_lo, v6, v4, vcc_lo
	s_waitcnt lgkmcnt(0)
	v_mul_lo_u32 v6, s1, v5
	v_mul_lo_u32 v4, s0, v4
	v_mad_u64_u32 v[1:2], null, s0, v5, v[1:2]
	v_cmp_ge_u64_e64 s0, s[16:17], s[10:11]
	s_and_b32 vcc_lo, exec_lo, s0
	v_add3_u32 v2, v6, v2, v4
	s_cbranch_vccnz .LBB0_9
; %bb.7:                                ;   in Loop: Header=BB0_2 Depth=1
	v_mov_b32_e32 v5, v7
	v_mov_b32_e32 v6, v8
	s_branch .LBB0_2
.LBB0_8:
	v_mov_b32_e32 v8, v6
	v_mov_b32_e32 v7, v5
.LBB0_9:
	s_lshl_b64 s[0:1], s[10:11], 3
	v_mul_hi_u32 v3, 0x5d1745e, v0
	s_add_u32 s0, s12, s0
	s_addc_u32 s1, s13, s1
	v_mov_b32_e32 v9, 0
	s_load_dwordx2 s[0:1], s[0:1], 0x0
	s_load_dwordx2 s[4:5], s[4:5], 0x20
                                        ; implicit-def: $vgpr14
                                        ; implicit-def: $vgpr23
                                        ; implicit-def: $vgpr27
                                        ; implicit-def: $vgpr17
                                        ; implicit-def: $vgpr37
                                        ; implicit-def: $vgpr6
                                        ; implicit-def: $vgpr22
                                        ; implicit-def: $vgpr12
                                        ; implicit-def: $vgpr40
                                        ; implicit-def: $vgpr13
                                        ; implicit-def: $vgpr38
                                        ; implicit-def: $vgpr15
                                        ; implicit-def: $vgpr42
                                        ; implicit-def: $vgpr16
                                        ; implicit-def: $vgpr41
                                        ; implicit-def: $vgpr18
                                        ; implicit-def: $vgpr46
                                        ; implicit-def: $vgpr20
                                        ; implicit-def: $vgpr44
                                        ; implicit-def: $vgpr24
                                        ; implicit-def: $vgpr48
                                        ; implicit-def: $vgpr26
                                        ; implicit-def: $vgpr43
                                        ; implicit-def: $vgpr19
                                        ; implicit-def: $vgpr49
                                        ; implicit-def: $vgpr30
                                        ; implicit-def: $vgpr47
                                        ; implicit-def: $vgpr25
                                        ; implicit-def: $vgpr51
                                        ; implicit-def: $vgpr31
                                        ; implicit-def: $vgpr50
                                        ; implicit-def: $vgpr28
                                        ; implicit-def: $vgpr53
                                        ; implicit-def: $vgpr32
                                        ; implicit-def: $vgpr52
                                        ; implicit-def: $vgpr29
                                        ; implicit-def: $vgpr54
                                        ; implicit-def: $vgpr33
                                        ; implicit-def: $vgpr21
                                        ; implicit-def: $vgpr34
	v_mul_u32_u24_e32 v3, 44, v3
	s_waitcnt lgkmcnt(0)
	v_mul_lo_u32 v4, s0, v8
	v_mul_lo_u32 v5, s1, v7
	v_mad_u64_u32 v[1:2], null, s0, v7, v[1:2]
	v_cmp_gt_u64_e32 vcc_lo, s[4:5], v[7:8]
	v_sub_nc_u32_e32 v8, v0, v3
                                        ; implicit-def: $vgpr7
	v_add3_u32 v2, v5, v2, v4
	v_mov_b32_e32 v4, 0
                                        ; implicit-def: $vgpr5
	v_lshlrev_b64 v[10:11], 2, v[1:2]
	s_and_saveexec_b32 s1, vcc_lo
	s_cbranch_execz .LBB0_13
; %bb.10:
	v_mov_b32_e32 v9, 0
	v_add_co_u32 v2, s0, s2, v10
	v_add_co_ci_u32_e64 v3, s0, s3, v11, s0
	v_lshlrev_b64 v[0:1], 2, v[8:9]
	v_mov_b32_e32 v4, v9
	s_mov_b32 s4, exec_lo
                                        ; implicit-def: $vgpr34
                                        ; implicit-def: $vgpr21
	v_add_co_u32 v0, s0, v2, v0
	v_add_co_ci_u32_e64 v1, s0, v3, v1, s0
	v_add_co_u32 v2, s0, 0x800, v0
	v_add_co_ci_u32_e64 v3, s0, 0, v1, s0
	s_clause 0x13
	global_load_dword v6, v[0:1], off offset:2024
	global_load_dword v13, v[2:3], off offset:152
	;; [unrolled: 1-line block ×5, first 2 shown]
	global_load_dword v5, v[0:1], off
	global_load_dword v7, v[0:1], off offset:176
	global_load_dword v12, v[0:1], off offset:352
	;; [unrolled: 1-line block ×14, first 2 shown]
	v_cmpx_gt_u32_e32 22, v8
	s_cbranch_execz .LBB0_12
; %bb.11:
	s_clause 0x1
	global_load_dword v9, v[0:1], off offset:1760
	global_load_dword v34, v[2:3], off offset:1560
	s_waitcnt vmcnt(1)
	v_lshrrev_b32_e32 v4, 16, v9
	s_waitcnt vmcnt(0)
	v_lshrrev_b32_e32 v21, 16, v34
.LBB0_12:
	s_or_b32 exec_lo, exec_lo, s4
	s_waitcnt vmcnt(14)
	v_lshrrev_b32_e32 v14, 16, v5
	s_waitcnt vmcnt(5)
	v_lshrrev_b32_e32 v23, 16, v27
	v_lshrrev_b32_e32 v17, 16, v7
	;; [unrolled: 1-line block ×12, first 2 shown]
	s_waitcnt vmcnt(3)
	v_lshrrev_b32_e32 v49, 16, v30
	v_lshrrev_b32_e32 v47, 16, v25
	s_waitcnt vmcnt(2)
	v_lshrrev_b32_e32 v51, 16, v31
	v_lshrrev_b32_e32 v50, 16, v28
	s_waitcnt vmcnt(1)
	v_lshrrev_b32_e32 v53, 16, v32
	v_lshrrev_b32_e32 v52, 16, v29
	s_waitcnt vmcnt(0)
	v_lshrrev_b32_e32 v54, 16, v33
.LBB0_13:
	s_or_b32 exec_lo, exec_lo, s1
	v_sub_f16_e32 v2, v5, v27
	v_sub_f16_e32 v6, v7, v6
	;; [unrolled: 1-line block ×5, first 2 shown]
	v_fma_f16 v5, v5, 2.0, -v2
	v_fma_f16 v7, v7, 2.0, -v6
	v_add_nc_u32_e32 v16, 44, v8
	v_sub_f16_e32 v36, v24, v26
	v_fma_f16 v12, v12, 2.0, -v13
	v_add_nc_u32_e32 v3, 0x58, v8
	v_fma_f16 v15, v15, 2.0, -v35
	v_sub_f16_e32 v30, v19, v30
	v_sub_f16_e32 v31, v25, v31
	v_lshl_add_u32 v55, v8, 2, 0
	v_pack_b32_f16 v2, v5, v2
	v_add_nc_u32_e32 v27, 0x84, v8
	v_fma_f16 v18, v18, 2.0, -v20
	v_lshl_add_u32 v56, v16, 2, 0
	v_pack_b32_f16 v5, v7, v6
	v_add_nc_u32_e32 v26, 0xb0, v8
	v_fma_f16 v39, v24, 2.0, -v36
	v_sub_f16_e32 v32, v28, v32
	v_lshl_add_u32 v60, v3, 2, 0
	v_pack_b32_f16 v6, v12, v13
	v_add_nc_u32_e32 v24, 0xdc, v8
	v_sub_f16_e32 v33, v29, v33
	v_fma_f16 v19, v19, 2.0, -v30
	v_sub_f16_e32 v0, v9, v34
	v_fma_f16 v34, v25, 2.0, -v31
	ds_write_b32 v55, v2
	v_lshl_add_u32 v62, v27, 2, 0
	v_pack_b32_f16 v2, v15, v35
	v_add_nc_u32_e32 v25, 0x108, v8
	v_add_nc_u32_e32 v57, 0x134, v8
	;; [unrolled: 1-line block ×5, first 2 shown]
	ds_write_b32 v56, v5
	v_lshl_add_u32 v63, v26, 2, 0
	v_pack_b32_f16 v5, v18, v20
	v_fma_f16 v28, v28, 2.0, -v32
	ds_write_b32 v60, v6
	v_lshl_add_u32 v61, v24, 2, 0
	v_pack_b32_f16 v6, v39, v36
	v_fma_f16 v29, v29, 2.0, -v33
	v_fma_f16 v1, v9, 2.0, -v0
	ds_write_b32 v62, v2
	ds_write_b32 v63, v5
	v_lshl_add_u32 v64, v25, 2, 0
	v_pack_b32_f16 v2, v19, v30
	v_lshl_add_u32 v65, v57, 2, 0
	v_lshl_add_u32 v66, v58, 2, 0
	;; [unrolled: 1-line block ×3, first 2 shown]
	v_cmp_gt_u32_e64 s0, 22, v8
	v_lshl_add_u32 v67, v45, 2, 0
	v_pack_b32_f16 v5, v34, v31
	ds_write_b32 v61, v6
	v_pack_b32_f16 v6, v28, v32
	v_pack_b32_f16 v7, v29, v33
	ds_write_b32 v64, v2
	ds_write_b32 v65, v5
	;; [unrolled: 1-line block ×4, first 2 shown]
	s_and_saveexec_b32 s1, s0
	s_cbranch_execz .LBB0_15
; %bb.14:
	v_perm_b32 v2, v0, v1, 0x5040100
	ds_write_b32 v67, v2
.LBB0_15:
	s_or_b32 exec_lo, exec_lo, s1
	v_lshl_add_u32 v2, v8, 1, 0
	s_waitcnt lgkmcnt(0)
	s_barrier
	buffer_gl0_inv
	ds_read_u16 v6, v2 offset:1012
	ds_read_u16 v7, v2 offset:1100
	;; [unrolled: 1-line block ×5, first 2 shown]
	ds_read_u16 v28, v2
	ds_read_u16 v29, v2 offset:88
	ds_read_u16 v30, v2 offset:176
	;; [unrolled: 1-line block ×14, first 2 shown]
	s_and_saveexec_b32 s1, s0
	s_cbranch_execz .LBB0_17
; %bb.16:
	ds_read_u16 v1, v2 offset:880
	ds_read_u16 v0, v2 offset:1804
.LBB0_17:
	s_or_b32 exec_lo, exec_lo, s1
	v_sub_f16_e32 v23, v14, v23
	v_sub_f16_e32 v37, v17, v37
	;; [unrolled: 1-line block ×5, first 2 shown]
	v_fma_f16 v69, v14, 2.0, -v23
	v_sub_f16_e32 v48, v44, v48
	v_sub_f16_e32 v21, v4, v21
	v_fma_f16 v17, v17, 2.0, -v37
	v_sub_f16_e32 v49, v43, v49
	v_fma_f16 v22, v22, 2.0, -v40
	;; [unrolled: 2-line block ×5, first 2 shown]
	v_fma_f16 v14, v4, 2.0, -v21
	v_pack_b32_f16 v4, v69, v23
	v_fma_f16 v43, v43, 2.0, -v49
	v_pack_b32_f16 v17, v17, v37
	;; [unrolled: 2-line block ×5, first 2 shown]
	s_waitcnt lgkmcnt(0)
	s_barrier
	buffer_gl0_inv
	ds_write_b32 v55, v4
	ds_write_b32 v56, v17
	;; [unrolled: 1-line block ×5, first 2 shown]
	v_pack_b32_f16 v4, v44, v48
	v_pack_b32_f16 v17, v43, v49
	;; [unrolled: 1-line block ×5, first 2 shown]
	ds_write_b32 v61, v4
	ds_write_b32 v64, v17
	ds_write_b32 v65, v22
	ds_write_b32 v66, v23
	ds_write_b32 v68, v37
	s_and_saveexec_b32 s1, s0
	s_cbranch_execz .LBB0_19
; %bb.18:
	v_perm_b32 v4, v21, v14, 0x5040100
	ds_write_b32 v67, v4
.LBB0_19:
	s_or_b32 exec_lo, exec_lo, s1
	s_waitcnt lgkmcnt(0)
	s_barrier
	buffer_gl0_inv
	ds_read_u16 v47, v2 offset:1012
	ds_read_u16 v48, v2 offset:1100
	;; [unrolled: 1-line block ×5, first 2 shown]
	ds_read_u16 v41, v2
	ds_read_u16 v42, v2 offset:88
	ds_read_u16 v43, v2 offset:176
	;; [unrolled: 1-line block ×14, first 2 shown]
	v_lshlrev_b32_e32 v17, 1, v8
	v_lshlrev_b32_e32 v60, 1, v16
	;; [unrolled: 1-line block ×10, first 2 shown]
	s_and_saveexec_b32 s1, s0
	s_cbranch_execz .LBB0_21
; %bb.20:
	ds_read_u16 v14, v2 offset:880
	ds_read_u16 v21, v2 offset:1804
.LBB0_21:
	s_or_b32 exec_lo, exec_lo, s1
	v_and_b32_e32 v22, 1, v8
	v_lshlrev_b32_e32 v45, 1, v45
	v_lshlrev_b32_e32 v57, 2, v22
	v_and_or_b32 v17, 0x7c, v17, v22
	v_and_or_b32 v62, 0x1fc, v62, v22
	v_and_or_b32 v68, 0x3fc, v64, v22
	v_and_or_b32 v61, 0x1fc, v61, v22
	global_load_dword v57, v57, s[8:9]
	v_and_or_b32 v69, 0x2fc, v65, v22
	v_and_or_b32 v60, 0xfc, v60, v22
	;; [unrolled: 1-line block ×5, first 2 shown]
	v_lshl_add_u32 v67, v17, 1, 0
	v_lshl_add_u32 v64, v62, 1, 0
	;; [unrolled: 1-line block ×9, first 2 shown]
	v_and_or_b32 v63, 0x1fc, v63, v22
	s_waitcnt vmcnt(0) lgkmcnt(0)
	s_barrier
	buffer_gl0_inv
	v_lshl_add_u32 v63, v63, 1, 0
	v_mul_f16_sdwa v17, v56, v57 dst_sel:DWORD dst_unused:UNUSED_PAD src0_sel:DWORD src1_sel:WORD_1
	v_mul_f16_sdwa v68, v47, v57 dst_sel:DWORD dst_unused:UNUSED_PAD src0_sel:DWORD src1_sel:WORD_1
	;; [unrolled: 1-line block ×11, first 2 shown]
	v_fmac_f16_e32 v17, v20, v57
	v_fmac_f16_e32 v68, v6, v57
	v_fmac_f16_e32 v69, v7, v57
	v_fmac_f16_e32 v70, v9, v57
	v_fmac_f16_e32 v71, v12, v57
	v_fmac_f16_e32 v72, v5, v57
	v_fmac_f16_e32 v73, v19, v57
	v_fmac_f16_e32 v74, v18, v57
	v_fmac_f16_e32 v75, v15, v57
	v_fmac_f16_e32 v76, v13, v57
	v_fmac_f16_e32 v77, v0, v57
	v_sub_f16_e32 v78, v28, v17
	v_sub_f16_e32 v68, v29, v68
	;; [unrolled: 1-line block ×11, first 2 shown]
	v_fma_f16 v28, v28, 2.0, -v78
	v_fma_f16 v29, v29, 2.0, -v68
	v_fma_f16 v30, v30, 2.0, -v69
	v_fma_f16 v31, v31, 2.0, -v70
	v_fma_f16 v32, v32, 2.0, -v71
	v_fma_f16 v33, v33, 2.0, -v72
	v_fma_f16 v34, v34, 2.0, -v73
	v_fma_f16 v35, v35, 2.0, -v74
	v_fma_f16 v36, v36, 2.0, -v75
	v_fma_f16 v39, v39, 2.0, -v76
	ds_write_b16 v67, v78 offset:4
	ds_write_b16 v67, v28
	ds_write_b16 v66, v29
	ds_write_b16 v66, v68 offset:4
	ds_write_b16 v65, v30
	ds_write_b16 v65, v69 offset:4
	;; [unrolled: 2-line block ×9, first 2 shown]
	s_and_saveexec_b32 s1, s0
	s_cbranch_execz .LBB0_23
; %bb.22:
	v_and_or_b32 v28, 0x3fc, v45, v22
	v_fma_f16 v1, v1, 2.0, -v17
	v_lshl_add_u32 v28, v28, 1, 0
	ds_write_b16 v28, v1
	ds_write_b16 v28, v17 offset:4
.LBB0_23:
	s_or_b32 exec_lo, exec_lo, s1
	v_mul_f16_sdwa v1, v20, v57 dst_sel:DWORD dst_unused:UNUSED_PAD src0_sel:DWORD src1_sel:WORD_1
	v_mul_f16_sdwa v5, v5, v57 dst_sel:DWORD dst_unused:UNUSED_PAD src0_sel:DWORD src1_sel:WORD_1
	;; [unrolled: 1-line block ×9, first 2 shown]
	v_fma_f16 v1, v56, v57, -v1
	v_fma_f16 v5, v51, v57, -v5
	v_mul_f16_sdwa v19, v19, v57 dst_sel:DWORD dst_unused:UNUSED_PAD src0_sel:DWORD src1_sel:WORD_1
	v_fma_f16 v18, v53, v57, -v18
	v_fma_f16 v15, v54, v57, -v15
	v_fma_f16 v13, v55, v57, -v13
	v_fma_f16 v6, v47, v57, -v6
	v_fma_f16 v7, v48, v57, -v7
	v_fma_f16 v9, v49, v57, -v9
	v_fma_f16 v12, v50, v57, -v12
	v_mul_f16_sdwa v0, v0, v57 dst_sel:DWORD dst_unused:UNUSED_PAD src0_sel:DWORD src1_sel:WORD_1
	v_fma_f16 v19, v52, v57, -v19
	v_sub_f16_e32 v1, v41, v1
	v_sub_f16_e32 v50, v4, v5
	;; [unrolled: 1-line block ×5, first 2 shown]
	v_fma_f16 v0, v21, v57, -v0
	v_sub_f16_e32 v20, v42, v6
	v_sub_f16_e32 v21, v43, v7
	v_sub_f16_e32 v47, v44, v9
	v_sub_f16_e32 v48, v46, v12
	v_fma_f16 v49, v41, 2.0, -v1
	v_fma_f16 v53, v4, 2.0, -v50
	;; [unrolled: 1-line block ×5, first 2 shown]
	s_waitcnt lgkmcnt(0)
	s_barrier
	buffer_gl0_inv
	ds_read_u16 v28, v2 offset:1320
	ds_read_u16 v12, v2
	ds_read_u16 v9, v2 offset:88
	ds_read_u16 v4, v2 offset:176
	;; [unrolled: 1-line block ×19, first 2 shown]
	v_sub_f16_e32 v19, v23, v19
	v_sub_f16_e32 v18, v14, v0
	v_fma_f16 v42, v42, 2.0, -v20
	v_fma_f16 v43, v43, 2.0, -v21
	;; [unrolled: 1-line block ×5, first 2 shown]
	s_waitcnt lgkmcnt(0)
	s_barrier
	buffer_gl0_inv
	ds_write_b16 v67, v49
	ds_write_b16 v67, v1 offset:4
	ds_write_b16 v66, v42
	ds_write_b16 v66, v20 offset:4
	ds_write_b16 v65, v43
	ds_write_b16 v65, v21 offset:4
	ds_write_b16 v64, v44
	ds_write_b16 v64, v47 offset:4
	ds_write_b16 v63, v46
	ds_write_b16 v63, v48 offset:4
	ds_write_b16 v62, v53
	ds_write_b16 v62, v50 offset:4
	ds_write_b16 v61, v23
	ds_write_b16 v61, v19 offset:4
	ds_write_b16 v60, v54
	ds_write_b16 v60, v51 offset:4
	ds_write_b16 v59, v55
	ds_write_b16 v59, v15 offset:4
	ds_write_b16 v58, v56
	ds_write_b16 v58, v52 offset:4
	s_and_saveexec_b32 s1, s0
	s_cbranch_execz .LBB0_25
; %bb.24:
	v_and_or_b32 v0, 0x3fc, v45, v22
	v_fma_f16 v1, v14, 2.0, -v18
	v_lshl_add_u32 v0, v0, 1, 0
	ds_write_b16 v0, v1
	ds_write_b16 v0, v18 offset:4
.LBB0_25:
	s_or_b32 exec_lo, exec_lo, s1
	v_and_b32_e32 v56, 3, v8
	s_waitcnt lgkmcnt(0)
	s_barrier
	buffer_gl0_inv
	v_and_b32_e32 v61, 0xff, v8
	v_lshlrev_b32_e32 v0, 3, v56
	v_lshrrev_b32_e32 v57, 2, v8
	v_lshrrev_b32_e32 v58, 2, v16
	;; [unrolled: 1-line block ×4, first 2 shown]
	global_load_dwordx2 v[0:1], v0, s[8:9] offset:8
	ds_read_u16 v23, v2
	ds_read_u16 v22, v2 offset:88
	ds_read_u16 v21, v2 offset:176
	;; [unrolled: 1-line block ×20, first 2 shown]
	v_lshrrev_b32_e32 v26, 2, v26
	v_lshrrev_b32_e32 v60, 2, v24
	;; [unrolled: 1-line block ×3, first 2 shown]
	v_and_b32_e32 v62, 0xff, v16
	v_mul_lo_u16 v61, 0xab, v61
	v_and_b32_e32 v63, 0xff, v3
	v_mul_u32_u24_e32 v57, 12, v57
	v_mul_u32_u24_e32 v58, 12, v58
	;; [unrolled: 1-line block ×7, first 2 shown]
	v_mul_lo_u16 v62, 0xab, v62
	v_lshrrev_b16 v61, 11, v61
	v_mul_lo_u16 v63, 0xab, v63
	v_or_b32_e32 v57, v57, v56
	v_or_b32_e32 v58, v58, v56
	;; [unrolled: 1-line block ×6, first 2 shown]
	v_mul_lo_u16 v64, v61, 12
	v_or_b32_e32 v25, v25, v56
	v_lshrrev_b16 v56, 11, v62
	v_lshrrev_b16 v62, 11, v63
	v_lshl_add_u32 v57, v57, 1, 0
	v_lshl_add_u32 v58, v58, 1, 0
	v_mov_b32_e32 v24, 6
	v_sub_nc_u16 v63, v8, v64
	v_mul_lo_u16 v64, v56, 12
	s_waitcnt vmcnt(0) lgkmcnt(0)
	s_barrier
	buffer_gl0_inv
	v_lshl_add_u32 v59, v59, 1, 0
	v_lshl_add_u32 v27, v27, 1, 0
	;; [unrolled: 1-line block ×5, first 2 shown]
	v_mul_u32_u24_sdwa v65, v63, v24 dst_sel:DWORD dst_unused:UNUSED_PAD src0_sel:BYTE_0 src1_sel:DWORD
	v_sub_nc_u16 v64, v16, v64
	v_cmp_gt_u32_e64 s0, 40, v8
	v_lshlrev_b32_e32 v65, 2, v65
	v_mul_f16_sdwa v66, v54, v0 dst_sel:DWORD dst_unused:UNUSED_PAD src0_sel:DWORD src1_sel:WORD_1
	v_mul_f16_sdwa v67, v40, v0 dst_sel:DWORD dst_unused:UNUSED_PAD src0_sel:DWORD src1_sel:WORD_1
	;; [unrolled: 1-line block ×28, first 2 shown]
	v_fmac_f16_e32 v66, v40, v0
	v_fma_f16 v40, v54, v0, -v67
	v_fmac_f16_e32 v68, v41, v1
	v_fma_f16 v41, v55, v1, -v69
	;; [unrolled: 2-line block ×4, first 2 shown]
	v_fmac_f16_e32 v82, v31, v0
	v_fmac_f16_e32 v84, v36, v1
	;; [unrolled: 1-line block ×5, first 2 shown]
	v_fma_f16 v35, v48, v0, -v75
	v_fmac_f16_e32 v76, v39, v1
	v_fma_f16 v39, v52, v1, -v77
	v_fmac_f16_e32 v78, v33, v0
	;; [unrolled: 2-line block ×3, first 2 shown]
	v_fma_f16 v38, v51, v1, -v81
	v_fma_f16 v31, v44, v0, -v83
	;; [unrolled: 1-line block ×5, first 2 shown]
	v_fmac_f16_e32 v90, v30, v0
	v_fma_f16 v0, v43, v0, -v91
	v_fmac_f16_e32 v92, v32, v1
	v_fma_f16 v1, v45, v1, -v93
	v_add_f16_e32 v32, v66, v68
	v_sub_f16_e32 v42, v40, v41
	v_add_f16_e32 v43, v23, v40
	v_add_f16_e32 v40, v40, v41
	;; [unrolled: 1-line block ×3, first 2 shown]
	v_sub_f16_e32 v47, v37, v28
	v_add_f16_e32 v48, v22, v37
	v_add_f16_e32 v37, v37, v28
	;; [unrolled: 1-line block ×5, first 2 shown]
	v_sub_f16_e32 v44, v66, v68
	v_add_f16_e32 v45, v9, v70
	v_sub_f16_e32 v49, v70, v72
	v_add_f16_e32 v50, v4, v74
	v_add_f16_e32 v51, v74, v76
	v_sub_f16_e32 v52, v35, v39
	v_add_f16_e32 v53, v21, v35
	;; [unrolled: 3-line block ×5, first 2 shown]
	v_sub_f16_e32 v74, v31, v36
	v_add_f16_e32 v75, v15, v31
	v_add_f16_e32 v31, v31, v36
	v_sub_f16_e32 v77, v82, v84
	v_add_f16_e32 v78, v7, v86
	v_sub_f16_e32 v81, v29, v34
	v_add_f16_e32 v82, v14, v29
	v_add_f16_e32 v29, v29, v34
	v_sub_f16_e32 v83, v86, v88
	v_add_f16_e32 v86, v90, v92
	v_sub_f16_e32 v87, v0, v1
	v_add_f16_e32 v89, v20, v0
	v_add_f16_e32 v0, v0, v1
	v_fmac_f16_e32 v12, -0.5, v32
	v_fmac_f16_e32 v23, -0.5, v40
	v_add_f16_e32 v85, v13, v90
	v_fmac_f16_e32 v9, -0.5, v46
	v_fmac_f16_e32 v22, -0.5, v37
	v_fmac_f16_e32 v6, -0.5, v73
	v_fmac_f16_e32 v7, -0.5, v79
	v_sub_f16_e32 v90, v90, v92
	v_add_f16_e32 v30, v30, v68
	v_add_f16_e32 v32, v43, v41
	v_fmac_f16_e32 v4, -0.5, v51
	v_fmac_f16_e32 v21, -0.5, v35
	;; [unrolled: 1-line block ×8, first 2 shown]
	v_fmamk_f16 v0, v42, 0xbaee, v12
	v_fmamk_f16 v41, v44, 0x3aee, v23
	v_fmac_f16_e32 v12, 0x3aee, v42
	v_fmac_f16_e32 v23, 0xbaee, v44
	v_add_f16_e32 v40, v45, v72
	v_add_f16_e32 v28, v48, v28
	;; [unrolled: 1-line block ×6, first 2 shown]
	v_fmamk_f16 v42, v47, 0xbaee, v9
	v_fmamk_f16 v43, v49, 0x3aee, v22
	;; [unrolled: 1-line block ×4, first 2 shown]
	v_add_f16_e32 v39, v53, v39
	v_add_f16_e32 v38, v69, v38
	;; [unrolled: 1-line block ×6, first 2 shown]
	v_fmac_f16_e32 v9, 0x3aee, v47
	v_fmac_f16_e32 v22, 0xbaee, v49
	v_fmamk_f16 v44, v52, 0xbaee, v4
	v_fmac_f16_e32 v4, 0x3aee, v52
	v_fmamk_f16 v45, v54, 0x3aee, v21
	;; [unrolled: 2-line block ×4, first 2 shown]
	v_fmac_f16_e32 v19, 0xbaee, v70
	v_fmac_f16_e32 v6, 0x3aee, v74
	v_fmamk_f16 v49, v77, 0x3aee, v15
	v_fmac_f16_e32 v15, 0xbaee, v77
	v_fmac_f16_e32 v7, 0x3aee, v81
	v_fmamk_f16 v51, v83, 0x3aee, v14
	v_fmac_f16_e32 v14, 0xbaee, v83
	v_fmamk_f16 v52, v87, 0xbaee, v13
	;; [unrolled: 2-line block ×3, first 2 shown]
	v_fmac_f16_e32 v20, 0xbaee, v90
	ds_write_b16 v57, v30
	ds_write_b16 v57, v0 offset:8
	ds_write_b16 v57, v12 offset:16
	ds_write_b16 v58, v40
	ds_write_b16 v58, v42 offset:8
	ds_write_b16 v58, v9 offset:16
	;; [unrolled: 3-line block ×7, first 2 shown]
	s_waitcnt lgkmcnt(0)
	s_barrier
	buffer_gl0_inv
	ds_read_u16 v29, v2
	ds_read_u16 v48, v2 offset:88
	ds_read_u16 v35, v2 offset:1408
	;; [unrolled: 1-line block ×20, first 2 shown]
	s_waitcnt lgkmcnt(0)
	s_barrier
	buffer_gl0_inv
	ds_write_b16 v57, v32
	ds_write_b16 v57, v41 offset:8
	ds_write_b16 v57, v23 offset:16
	ds_write_b16 v58, v28
	ds_write_b16 v58, v43 offset:8
	ds_write_b16 v58, v22 offset:16
	;; [unrolled: 3-line block ×7, first 2 shown]
	v_mul_lo_u16 v1, v62, 12
	v_mul_u32_u24_sdwa v0, v64, v24 dst_sel:DWORD dst_unused:UNUSED_PAD src0_sel:BYTE_0 src1_sel:DWORD
	s_waitcnt lgkmcnt(0)
	s_barrier
	buffer_gl0_inv
	v_sub_nc_u16 v1, v3, v1
	global_load_dwordx4 v[25:28], v65, s[8:9] offset:40
	v_lshlrev_b32_e32 v0, 2, v0
	global_load_dwordx2 v[41:42], v65, s[8:9] offset:56
	v_mul_u32_u24_sdwa v3, v1, v24 dst_sel:DWORD dst_unused:UNUSED_PAD src0_sel:BYTE_0 src1_sel:DWORD
	global_load_dwordx4 v[37:40], v0, s[8:9] offset:40
	v_lshlrev_b32_e32 v3, 2, v3
	s_clause 0x2
	global_load_dwordx2 v[43:44], v0, s[8:9] offset:56
	global_load_dwordx4 v[21:24], v3, s[8:9] offset:40
	global_load_dwordx2 v[45:46], v3, s[8:9] offset:56
	v_mov_b32_e32 v0, 0xa8
	v_mov_b32_e32 v3, 1
	v_mul_u32_u24_sdwa v4, v61, v0 dst_sel:DWORD dst_unused:UNUSED_PAD src0_sel:WORD_0 src1_sel:DWORD
	v_mul_u32_u24_sdwa v5, v56, v0 dst_sel:DWORD dst_unused:UNUSED_PAD src0_sel:WORD_0 src1_sel:DWORD
	v_lshlrev_b32_sdwa v6, v3, v63 dst_sel:DWORD dst_unused:UNUSED_PAD src0_sel:DWORD src1_sel:BYTE_0
	v_lshlrev_b32_sdwa v7, v3, v64 dst_sel:DWORD dst_unused:UNUSED_PAD src0_sel:DWORD src1_sel:BYTE_0
	v_mul_u32_u24_sdwa v0, v62, v0 dst_sel:DWORD dst_unused:UNUSED_PAD src0_sel:WORD_0 src1_sel:DWORD
	v_lshlrev_b32_sdwa v9, v3, v1 dst_sel:DWORD dst_unused:UNUSED_PAD src0_sel:DWORD src1_sel:BYTE_0
	v_add3_u32 v3, 0, v4, v6
	v_add3_u32 v1, 0, v5, v7
	ds_read_u16 v19, v2 offset:1320
	ds_read_u16 v32, v2 offset:1584
	ds_read_u16 v15, v2
	ds_read_u16 v5, v2 offset:88
	ds_read_u16 v47, v2 offset:264
	;; [unrolled: 1-line block ×18, first 2 shown]
	v_add3_u32 v0, 0, v0, v9
	s_waitcnt vmcnt(0) lgkmcnt(0)
	s_barrier
	buffer_gl0_inv
	v_mul_f16_sdwa v53, v47, v25 dst_sel:DWORD dst_unused:UNUSED_PAD src0_sel:DWORD src1_sel:WORD_1
	v_mul_f16_sdwa v52, v51, v26 dst_sel:DWORD dst_unused:UNUSED_PAD src0_sel:DWORD src1_sel:WORD_1
	v_mul_f16_sdwa v56, v19, v41 dst_sel:DWORD dst_unused:UNUSED_PAD src0_sel:DWORD src1_sel:WORD_1
	v_mul_f16_sdwa v57, v32, v42 dst_sel:DWORD dst_unused:UNUSED_PAD src0_sel:DWORD src1_sel:WORD_1
	v_mul_f16_sdwa v64, v67, v25 dst_sel:DWORD dst_unused:UNUSED_PAD src0_sel:DWORD src1_sel:WORD_1
	v_mul_f16_sdwa v90, v66, v26 dst_sel:DWORD dst_unused:UNUSED_PAD src0_sel:DWORD src1_sel:WORD_1
	v_mul_f16_sdwa v54, v59, v27 dst_sel:DWORD dst_unused:UNUSED_PAD src0_sel:DWORD src1_sel:WORD_1
	v_mul_f16_sdwa v91, v77, v27 dst_sel:DWORD dst_unused:UNUSED_PAD src0_sel:DWORD src1_sel:WORD_1
	v_mul_f16_sdwa v55, v60, v28 dst_sel:DWORD dst_unused:UNUSED_PAD src0_sel:DWORD src1_sel:WORD_1
	v_mul_f16_sdwa v92, v74, v28 dst_sel:DWORD dst_unused:UNUSED_PAD src0_sel:DWORD src1_sel:WORD_1
	v_mul_f16_sdwa v93, v69, v41 dst_sel:DWORD dst_unused:UNUSED_PAD src0_sel:DWORD src1_sel:WORD_1
	v_mul_f16_sdwa v94, v81, v42 dst_sel:DWORD dst_unused:UNUSED_PAD src0_sel:DWORD src1_sel:WORD_1
	v_mul_f16_sdwa v20, v49, v37 dst_sel:DWORD dst_unused:UNUSED_PAD src0_sel:DWORD src1_sel:WORD_1
	v_mul_f16_sdwa v95, v68, v37 dst_sel:DWORD dst_unused:UNUSED_PAD src0_sel:DWORD src1_sel:WORD_1
	v_mul_f16_sdwa v30, v58, v38 dst_sel:DWORD dst_unused:UNUSED_PAD src0_sel:DWORD src1_sel:WORD_1
	v_mul_f16_sdwa v96, v50, v38 dst_sel:DWORD dst_unused:UNUSED_PAD src0_sel:DWORD src1_sel:WORD_1
	v_mul_f16_sdwa v97, v76, v39 dst_sel:DWORD dst_unused:UNUSED_PAD src0_sel:DWORD src1_sel:WORD_1
	v_mul_f16_sdwa v98, v73, v40 dst_sel:DWORD dst_unused:UNUSED_PAD src0_sel:DWORD src1_sel:WORD_1
	v_mul_f16_sdwa v34, v63, v43 dst_sel:DWORD dst_unused:UNUSED_PAD src0_sel:DWORD src1_sel:WORD_1
	v_mul_f16_sdwa v99, v35, v43 dst_sel:DWORD dst_unused:UNUSED_PAD src0_sel:DWORD src1_sel:WORD_1
	v_mul_f16_sdwa v36, v87, v44 dst_sel:DWORD dst_unused:UNUSED_PAD src0_sel:DWORD src1_sel:WORD_1
	v_mul_f16_sdwa v100, v80, v44 dst_sel:DWORD dst_unused:UNUSED_PAD src0_sel:DWORD src1_sel:WORD_1
	v_mul_f16_sdwa v6, v83, v21 dst_sel:DWORD dst_unused:UNUSED_PAD src0_sel:DWORD src1_sel:WORD_1
	v_mul_f16_sdwa v7, v86, v22 dst_sel:DWORD dst_unused:UNUSED_PAD src0_sel:DWORD src1_sel:WORD_1
	v_mul_f16_sdwa v102, v78, v22 dst_sel:DWORD dst_unused:UNUSED_PAD src0_sel:DWORD src1_sel:WORD_1
	v_mul_f16_sdwa v13, v89, v45 dst_sel:DWORD dst_unused:UNUSED_PAD src0_sel:DWORD src1_sel:WORD_1
	v_mul_f16_sdwa v14, v88, v46 dst_sel:DWORD dst_unused:UNUSED_PAD src0_sel:DWORD src1_sel:WORD_1
	v_fmac_f16_e32 v53, v67, v25
	v_fmac_f16_e32 v52, v66, v26
	v_fmac_f16_e32 v56, v69, v41
	v_fmac_f16_e32 v57, v81, v42
	v_mul_f16_sdwa v31, v61, v39 dst_sel:DWORD dst_unused:UNUSED_PAD src0_sel:DWORD src1_sel:WORD_1
	v_mul_f16_sdwa v33, v62, v40 dst_sel:DWORD dst_unused:UNUSED_PAD src0_sel:DWORD src1_sel:WORD_1
	;; [unrolled: 1-line block ×9, first 2 shown]
	v_fma_f16 v65, v47, v25, -v64
	v_fma_f16 v66, v51, v26, -v90
	v_fmac_f16_e32 v54, v77, v27
	v_fma_f16 v64, v59, v27, -v91
	v_fmac_f16_e32 v55, v74, v28
	;; [unrolled: 2-line block ×4, first 2 shown]
	v_fma_f16 v60, v58, v38, -v96
	v_fma_f16 v58, v61, v39, -v97
	;; [unrolled: 1-line block ×5, first 2 shown]
	v_fmac_f16_e32 v34, v35, v43
	v_fma_f16 v62, v63, v43, -v99
	v_fmac_f16_e32 v36, v80, v44
	v_fma_f16 v63, v87, v44, -v100
	v_fmac_f16_e32 v6, v70, v21
	v_fmac_f16_e32 v7, v78, v22
	v_fma_f16 v38, v86, v22, -v102
	v_fmac_f16_e32 v13, v82, v45
	v_fmac_f16_e32 v14, v79, v46
	v_add_f16_e32 v19, v53, v57
	v_add_f16_e32 v22, v52, v56
	v_fmac_f16_e32 v31, v76, v39
	v_fmac_f16_e32 v33, v73, v40
	v_fma_f16 v37, v83, v21, -v101
	v_fmac_f16_e32 v9, v75, v23
	v_fma_f16 v35, v85, v23, -v103
	v_fmac_f16_e32 v12, v72, v24
	v_fma_f16 v39, v84, v24, -v104
	v_fma_f16 v50, v89, v45, -v105
	v_fma_f16 v51, v88, v46, -v106
	v_sub_f16_e32 v21, v65, v69
	v_sub_f16_e32 v23, v66, v68
	v_add_f16_e32 v24, v54, v55
	v_sub_f16_e32 v25, v67, v64
	v_add_f16_e32 v26, v20, v36
	;; [unrolled: 2-line block ×3, first 2 shown]
	v_sub_f16_e32 v32, v60, v62
	v_sub_f16_e32 v41, v61, v58
	v_add_f16_e32 v42, v6, v14
	v_add_f16_e32 v44, v7, v13
	;; [unrolled: 1-line block ×4, first 2 shown]
	v_sub_f16_e32 v43, v37, v51
	v_sub_f16_e32 v45, v38, v50
	v_add_f16_e32 v46, v9, v12
	v_sub_f16_e32 v47, v39, v35
	v_sub_f16_e32 v70, v22, v19
	;; [unrolled: 1-line block ×4, first 2 shown]
	v_add_f16_e32 v72, v25, v23
	v_sub_f16_e32 v73, v25, v23
	v_sub_f16_e32 v23, v23, v21
	v_add_f16_e32 v74, v28, v26
	v_add_f16_e32 v76, v41, v32
	v_sub_f16_e32 v77, v41, v32
	v_sub_f16_e32 v32, v32, v27
	v_add_f16_e32 v78, v44, v42
	v_add_f16_e32 v24, v24, v49
	v_sub_f16_e32 v25, v21, v25
	v_sub_f16_e32 v75, v28, v26
	;; [unrolled: 1-line block ×8, first 2 shown]
	v_add_f16_e32 v80, v47, v45
	v_sub_f16_e32 v81, v47, v45
	v_sub_f16_e32 v45, v45, v43
	v_add_f16_e32 v49, v72, v21
	v_add_f16_e32 v40, v40, v74
	v_mul_f16_e32 v19, 0x3a52, v19
	v_add_f16_e32 v27, v76, v27
	v_mul_f16_e32 v21, 0x2b26, v22
	v_mul_f16_e32 v72, 0x3846, v73
	v_add_f16_e32 v46, v46, v78
	v_mul_f16_e32 v73, 0xbb00, v23
	v_mul_f16_e32 v76, 0x3846, v77
	;; [unrolled: 1-line block ×3, first 2 shown]
	v_add_f16_e32 v29, v29, v24
	v_sub_f16_e32 v47, v43, v47
	v_mul_f16_e32 v26, 0x3a52, v26
	v_add_f16_e32 v43, v80, v43
	v_mul_f16_e32 v74, 0x2b26, v28
	v_mul_f16_e32 v42, 0x3a52, v42
	;; [unrolled: 1-line block ×5, first 2 shown]
	v_fmamk_f16 v22, v22, 0x2b26, v19
	v_fma_f16 v82, v70, 0x39e0, -v21
	v_fma_f16 v19, v70, 0xb9e0, -v19
	v_fmamk_f16 v70, v25, 0xb574, v72
	v_fma_f16 v25, v25, 0x3574, -v73
	v_add_f16_e32 v48, v48, v40
	v_fma_f16 v32, v32, 0xbb00, -v76
	v_fmamk_f16 v73, v41, 0xb574, v76
	v_fma_f16 v41, v41, 0x3574, -v77
	v_add_f16_e32 v21, v71, v46
	v_fmamk_f16 v24, v24, 0xbcab, v29
	v_fma_f16 v23, v23, 0xbb00, -v72
	v_fmamk_f16 v28, v28, 0x2b26, v26
	v_fma_f16 v72, v75, 0x39e0, -v74
	v_fma_f16 v26, v75, 0xb9e0, -v26
	v_fmamk_f16 v44, v44, 0x2b26, v42
	v_fma_f16 v71, v79, 0x39e0, -v78
	;; [unrolled: 3-line block ×3, first 2 shown]
	v_fma_f16 v47, v47, 0x3574, -v81
	v_fmac_f16_e32 v70, 0xb70e, v49
	v_fmamk_f16 v40, v40, 0xbcab, v48
	v_fmac_f16_e32 v73, 0xb70e, v27
	v_fmac_f16_e32 v32, 0xb70e, v27
	;; [unrolled: 1-line block ×3, first 2 shown]
	v_fmamk_f16 v27, v46, 0xbcab, v21
	v_add_f16_e32 v22, v22, v24
	v_fmac_f16_e32 v25, 0xb70e, v49
	v_add_f16_e32 v19, v19, v24
	v_fmac_f16_e32 v23, 0xb70e, v49
	ds_write_b16 v3, v29
	v_add_f16_e32 v29, v82, v24
	v_fmac_f16_e32 v74, 0xb70e, v43
	v_fmac_f16_e32 v45, 0xb70e, v43
	;; [unrolled: 1-line block ×3, first 2 shown]
	v_add_f16_e32 v24, v28, v40
	v_add_f16_e32 v28, v72, v40
	;; [unrolled: 1-line block ×8, first 2 shown]
	v_sub_f16_e32 v46, v29, v23
	v_add_f16_e32 v49, v23, v29
	v_sub_f16_e32 v71, v19, v25
	v_sub_f16_e32 v70, v22, v70
	v_add_f16_e32 v72, v73, v24
	v_add_f16_e32 v75, v41, v26
	v_sub_f16_e32 v76, v28, v32
	v_add_f16_e32 v19, v32, v28
	v_sub_f16_e32 v28, v26, v41
	v_sub_f16_e32 v29, v24, v73
	v_add_f16_e32 v22, v74, v40
	v_add_f16_e32 v23, v47, v27
	v_sub_f16_e32 v24, v43, v45
	v_add_f16_e32 v25, v45, v43
	v_sub_f16_e32 v26, v27, v47
	v_sub_f16_e32 v27, v40, v74
	ds_write_b16 v3, v42 offset:24
	ds_write_b16 v3, v44 offset:48
	;; [unrolled: 1-line block ×6, first 2 shown]
	ds_write_b16 v1, v48
	ds_write_b16 v1, v72 offset:24
	ds_write_b16 v1, v75 offset:48
	;; [unrolled: 1-line block ×6, first 2 shown]
	ds_write_b16 v0, v21
	ds_write_b16 v0, v22 offset:24
	ds_write_b16 v0, v23 offset:48
	;; [unrolled: 1-line block ×6, first 2 shown]
	s_waitcnt lgkmcnt(0)
	s_barrier
	buffer_gl0_inv
	ds_read_u16 v32, v2
	ds_read_u16 v47, v2 offset:168
	ds_read_u16 v45, v2 offset:336
	;; [unrolled: 1-line block ×10, first 2 shown]
	s_and_saveexec_b32 s1, s0
	s_cbranch_execz .LBB0_27
; %bb.26:
	ds_read_u16 v19, v2 offset:88
	ds_read_u16 v28, v2 offset:256
	;; [unrolled: 1-line block ×11, first 2 shown]
.LBB0_27:
	s_or_b32 exec_lo, exec_lo, s1
	v_add_f16_e32 v59, v59, v63
	v_add_f16_e32 v60, v60, v62
	v_sub_f16_e32 v20, v20, v36
	v_add_f16_e32 v36, v58, v61
	v_sub_f16_e32 v30, v30, v34
	v_sub_f16_e32 v31, v33, v31
	v_add_f16_e32 v33, v60, v59
	v_sub_f16_e32 v34, v60, v59
	v_sub_f16_e32 v58, v59, v36
	v_sub_f16_e32 v59, v36, v60
	v_add_f16_e32 v60, v31, v30
	v_add_f16_e32 v33, v36, v33
	v_sub_f16_e32 v36, v31, v30
	v_sub_f16_e32 v31, v20, v31
	v_sub_f16_e32 v30, v30, v20
	v_add_f16_e32 v20, v60, v20
	v_add_f16_e32 v5, v5, v33
	v_mul_f16_e32 v58, 0x3a52, v58
	v_mul_f16_e32 v60, 0x2b26, v59
	;; [unrolled: 1-line block ×4, first 2 shown]
	v_fmamk_f16 v33, v33, 0xbcab, v5
	v_fmamk_f16 v59, v59, 0x2b26, v58
	v_fma_f16 v60, v34, 0x39e0, -v60
	v_fma_f16 v30, v30, 0xbb00, -v36
	;; [unrolled: 1-line block ×3, first 2 shown]
	v_fmamk_f16 v58, v31, 0xb574, v36
	v_fma_f16 v31, v31, 0x3574, -v61
	v_add_f16_e32 v36, v59, v33
	v_add_f16_e32 v59, v60, v33
	v_fmac_f16_e32 v30, 0xb70e, v20
	v_add_f16_e32 v65, v65, v69
	v_add_f16_e32 v66, v66, v68
	v_add_f16_e32 v33, v34, v33
	v_fmac_f16_e32 v58, 0xb70e, v20
	v_fmac_f16_e32 v31, 0xb70e, v20
	v_add_f16_e32 v61, v30, v59
	v_sub_f16_e32 v20, v59, v30
	v_add_f16_e32 v30, v37, v51
	v_add_f16_e32 v34, v38, v50
	v_sub_f16_e32 v53, v53, v57
	v_add_f16_e32 v57, v64, v67
	v_sub_f16_e32 v52, v52, v56
	v_sub_f16_e32 v54, v55, v54
	v_add_f16_e32 v55, v66, v65
	v_sub_f16_e32 v6, v6, v14
	v_add_f16_e32 v14, v35, v39
	v_sub_f16_e32 v7, v7, v13
	v_sub_f16_e32 v9, v12, v9
	v_add_f16_e32 v12, v34, v30
	v_sub_f16_e32 v56, v66, v65
	v_sub_f16_e32 v64, v65, v57
	;; [unrolled: 1-line block ×3, first 2 shown]
	v_add_f16_e32 v66, v54, v52
	v_add_f16_e32 v55, v57, v55
	v_sub_f16_e32 v57, v54, v52
	v_sub_f16_e32 v52, v52, v53
	;; [unrolled: 1-line block ×5, first 2 shown]
	v_add_f16_e32 v30, v9, v7
	v_add_f16_e32 v12, v14, v12
	v_sub_f16_e32 v14, v9, v7
	v_sub_f16_e32 v7, v7, v6
	;; [unrolled: 1-line block ×3, first 2 shown]
	v_add_f16_e32 v53, v66, v53
	v_add_f16_e32 v15, v15, v55
	v_mul_f16_e32 v64, 0x3a52, v64
	v_mul_f16_e32 v66, 0x2b26, v65
	;; [unrolled: 1-line block ×4, first 2 shown]
	v_sub_f16_e32 v9, v6, v9
	v_add_f16_e32 v6, v30, v6
	v_add_f16_e32 v30, v4, v12
	v_mul_f16_e32 v4, 0x3a52, v35
	v_mul_f16_e32 v35, 0x2b26, v34
	;; [unrolled: 1-line block ×4, first 2 shown]
	v_fmamk_f16 v55, v55, 0xbcab, v15
	v_fmamk_f16 v65, v65, 0x2b26, v64
	v_fma_f16 v66, v56, 0x39e0, -v66
	v_fma_f16 v56, v56, 0xb9e0, -v64
	v_fmamk_f16 v64, v54, 0xb574, v57
	v_fma_f16 v54, v54, 0x3574, -v67
	v_fma_f16 v52, v52, 0xbb00, -v57
	v_fmamk_f16 v12, v12, 0xbcab, v30
	v_fmamk_f16 v34, v34, 0x2b26, v4
	v_fma_f16 v35, v13, 0x39e0, -v35
	v_fma_f16 v4, v13, 0xb9e0, -v4
	v_fmamk_f16 v13, v9, 0xb574, v14
	v_fma_f16 v7, v7, 0xbb00, -v14
	v_fma_f16 v9, v9, 0x3574, -v37
	v_add_f16_e32 v57, v65, v55
	v_fmac_f16_e32 v64, 0xb70e, v53
	v_add_f16_e32 v65, v66, v55
	v_add_f16_e32 v55, v56, v55
	v_fmac_f16_e32 v54, 0xb70e, v53
	v_fmac_f16_e32 v52, 0xb70e, v53
	v_add_f16_e32 v14, v34, v12
	v_add_f16_e32 v37, v35, v12
	;; [unrolled: 1-line block ×3, first 2 shown]
	v_fmac_f16_e32 v13, 0xb70e, v6
	v_fmac_f16_e32 v9, 0xb70e, v6
	;; [unrolled: 1-line block ×3, first 2 shown]
	v_sub_f16_e32 v53, v57, v64
	v_sub_f16_e32 v56, v55, v54
	v_add_f16_e32 v66, v52, v65
	v_sub_f16_e32 v52, v65, v52
	v_add_f16_e32 v54, v54, v55
	v_add_f16_e32 v55, v64, v57
	v_sub_f16_e32 v57, v36, v58
	v_sub_f16_e32 v60, v33, v31
	v_add_f16_e32 v38, v31, v33
	v_add_f16_e32 v39, v58, v36
	v_sub_f16_e32 v33, v14, v13
	v_sub_f16_e32 v34, v4, v9
	v_add_f16_e32 v35, v7, v37
	v_sub_f16_e32 v36, v37, v7
	v_add_f16_e32 v37, v9, v4
	v_add_f16_e32 v31, v13, v14
	s_waitcnt lgkmcnt(0)
	s_barrier
	buffer_gl0_inv
	ds_write_b16 v3, v15
	ds_write_b16 v3, v53 offset:24
	ds_write_b16 v3, v56 offset:48
	ds_write_b16 v3, v66 offset:72
	ds_write_b16 v3, v52 offset:96
	ds_write_b16 v3, v54 offset:120
	ds_write_b16 v3, v55 offset:144
	ds_write_b16 v1, v5
	ds_write_b16 v1, v57 offset:24
	ds_write_b16 v1, v60 offset:48
	ds_write_b16 v1, v61 offset:72
	ds_write_b16 v1, v20 offset:96
	ds_write_b16 v1, v38 offset:120
	ds_write_b16 v1, v39 offset:144
	;; [unrolled: 7-line block ×3, first 2 shown]
	s_waitcnt lgkmcnt(0)
	s_barrier
	buffer_gl0_inv
	ds_read_u16 v50, v2
	ds_read_u16 v57, v2 offset:168
	ds_read_u16 v56, v2 offset:336
	ds_read_u16 v54, v2 offset:504
	ds_read_u16 v53, v2 offset:672
	ds_read_u16 v51, v2 offset:840
	ds_read_u16 v52, v2 offset:1008
	ds_read_u16 v55, v2 offset:1176
	ds_read_u16 v58, v2 offset:1344
	ds_read_u16 v59, v2 offset:1512
	ds_read_u16 v60, v2 offset:1680
	s_and_saveexec_b32 s1, s0
	s_cbranch_execz .LBB0_29
; %bb.28:
	ds_read_u16 v20, v2 offset:88
	ds_read_u16 v38, v2 offset:256
	;; [unrolled: 1-line block ×11, first 2 shown]
.LBB0_29:
	s_or_b32 exec_lo, exec_lo, s1
	s_and_saveexec_b32 s1, vcc_lo
	s_cbranch_execz .LBB0_32
; %bb.30:
	v_mul_u32_u24_e32 v0, 10, v8
	v_mov_b32_e32 v9, 0
	v_add_co_u32 v10, vcc_lo, s2, v10
	v_add_co_ci_u32_e32 v11, vcc_lo, s3, v11, vcc_lo
	v_lshlrev_b32_e32 v4, 2, v0
	v_lshlrev_b64 v[12:13], 2, v[8:9]
	s_clause 0x2
	global_load_dwordx4 v[0:3], v4, s[8:9] offset:328
	global_load_dwordx2 v[14:15], v4, s[8:9] offset:360
	global_load_dwordx4 v[4:7], v4, s[8:9] offset:344
	v_add_co_u32 v10, vcc_lo, v10, v12
	v_add_co_ci_u32_e32 v11, vcc_lo, v11, v13, vcc_lo
	v_add_co_u32 v12, vcc_lo, 0x800, v10
	v_add_co_ci_u32_e32 v13, vcc_lo, 0, v11, vcc_lo
	s_waitcnt vmcnt(2) lgkmcnt(9)
	v_mul_f16_sdwa v61, v57, v0 dst_sel:DWORD dst_unused:UNUSED_PAD src0_sel:DWORD src1_sel:WORD_1
	s_waitcnt vmcnt(1) lgkmcnt(0)
	v_mul_f16_sdwa v62, v60, v15 dst_sel:DWORD dst_unused:UNUSED_PAD src0_sel:DWORD src1_sel:WORD_1
	v_mul_f16_sdwa v63, v49, v15 dst_sel:DWORD dst_unused:UNUSED_PAD src0_sel:DWORD src1_sel:WORD_1
	;; [unrolled: 1-line block ×9, first 2 shown]
	s_waitcnt vmcnt(0)
	v_mul_f16_sdwa v77, v51, v4 dst_sel:DWORD dst_unused:UNUSED_PAD src0_sel:DWORD src1_sel:WORD_1
	v_mul_f16_sdwa v78, v52, v5 dst_sel:DWORD dst_unused:UNUSED_PAD src0_sel:DWORD src1_sel:WORD_1
	;; [unrolled: 1-line block ×3, first 2 shown]
	v_fmac_f16_e32 v61, v47, v0
	v_fmac_f16_e32 v62, v49, v15
	v_fma_f16 v15, v60, v15, -v63
	v_fma_f16 v0, v57, v0, -v64
	v_mul_f16_sdwa v69, v54, v2 dst_sel:DWORD dst_unused:UNUSED_PAD src0_sel:DWORD src1_sel:WORD_1
	v_mul_f16_sdwa v70, v58, v7 dst_sel:DWORD dst_unused:UNUSED_PAD src0_sel:DWORD src1_sel:WORD_1
	;; [unrolled: 1-line block ×5, first 2 shown]
	v_fmac_f16_e32 v65, v45, v1
	v_fmac_f16_e32 v66, v48, v14
	v_fma_f16 v14, v59, v14, -v67
	v_fma_f16 v1, v56, v1, -v68
	v_fmac_f16_e32 v73, v42, v3
	v_fma_f16 v3, v53, v3, -v76
	v_fmac_f16_e32 v77, v40, v4
	v_fmac_f16_e32 v78, v41, v5
	v_fma_f16 v4, v51, v4, -v80
	v_add_f16_e32 v41, v0, v15
	v_sub_f16_e32 v51, v0, v15
	v_add_f16_e32 v0, v50, v0
	v_add_f16_e32 v53, v32, v61
	v_mul_f16_sdwa v71, v46, v7 dst_sel:DWORD dst_unused:UNUSED_PAD src0_sel:DWORD src1_sel:WORD_1
	v_mul_f16_sdwa v75, v43, v6 dst_sel:DWORD dst_unused:UNUSED_PAD src0_sel:DWORD src1_sel:WORD_1
	v_fmac_f16_e32 v69, v44, v2
	v_fmac_f16_e32 v70, v46, v7
	;; [unrolled: 1-line block ×3, first 2 shown]
	v_fma_f16 v2, v54, v2, -v72
	v_add_f16_e32 v43, v1, v14
	v_sub_f16_e32 v54, v1, v14
	v_add_f16_e32 v0, v0, v1
	v_add_f16_e32 v1, v53, v65
	v_fma_f16 v7, v58, v7, -v71
	v_fma_f16 v6, v55, v6, -v75
	;; [unrolled: 1-line block ×3, first 2 shown]
	v_sub_f16_e32 v40, v61, v62
	v_sub_f16_e32 v42, v65, v66
	v_sub_f16_e32 v44, v69, v70
	v_sub_f16_e32 v46, v73, v74
	v_sub_f16_e32 v48, v77, v78
	v_add_f16_e32 v1, v1, v69
	v_add_f16_e32 v0, v0, v2
	;; [unrolled: 1-line block ×6, first 2 shown]
	v_sub_f16_e32 v56, v2, v7
	v_sub_f16_e32 v58, v3, v6
	;; [unrolled: 1-line block ×3, first 2 shown]
	v_mul_f16_e32 v63, 0xb853, v40
	v_mul_f16_e32 v64, 0xbb47, v42
	;; [unrolled: 1-line block ×30, first 2 shown]
	v_add_f16_e32 v1, v1, v73
	v_add_f16_e32 v0, v0, v3
	v_add_f16_e32 v55, v65, v66
	v_add_f16_e32 v57, v69, v70
	v_add_f16_e32 v59, v73, v74
	v_add_f16_e32 v61, v77, v78
	v_mul_f16_e32 v53, 0x3853, v54
	v_mul_f16_e32 v65, 0xbb47, v54
	;; [unrolled: 1-line block ×20, first 2 shown]
	v_fmamk_f16 v109, v41, 0x3abb, v63
	v_fmamk_f16 v110, v43, 0x36a6, v64
	;; [unrolled: 1-line block ×20, first 2 shown]
	v_fma_f16 v40, v41, 0xbbad, -v40
	v_fma_f16 v86, v41, 0xb93d, -v86
	v_fma_f16 v81, v41, 0xb08e, -v81
	v_fma_f16 v72, v41, 0x36a6, -v72
	v_fma_f16 v41, v41, 0x3abb, -v63
	v_fmamk_f16 v63, v43, 0x3abb, v42
	v_fma_f16 v42, v43, 0x3abb, -v42
	v_fma_f16 v87, v43, 0xb08e, -v87
	v_fma_f16 v82, v43, 0xbbad, -v82
	v_fma_f16 v75, v43, 0xb93d, -v75
	v_fma_f16 v43, v43, 0x36a6, -v64
	v_fmamk_f16 v64, v45, 0xb93d, v44
	;; [unrolled: 6-line block ×4, first 2 shown]
	v_fma_f16 v48, v49, 0xb08e, -v48
	v_fma_f16 v90, v49, 0x36a6, -v90
	;; [unrolled: 1-line block ×4, first 2 shown]
	v_fmamk_f16 v129, v49, 0xbbad, v71
	v_fma_f16 v49, v49, 0xbbad, -v71
	v_fma_f16 v71, v52, 0xbbad, -v51
	v_fmac_f16_e32 v51, 0xbbad, v52
	v_fma_f16 v130, v52, 0xb93d, -v94
	v_fmac_f16_e32 v94, 0xb93d, v52
	;; [unrolled: 2-line block ×5, first 2 shown]
	v_add_f16_e32 v1, v1, v77
	v_add_f16_e32 v0, v0, v4
	v_fma_f16 v52, v55, 0x3abb, -v53
	v_fmac_f16_e32 v53, 0x3abb, v55
	v_fma_f16 v134, v55, 0xb08e, -v95
	v_fmac_f16_e32 v95, 0xb08e, v55
	;; [unrolled: 2-line block ×20, first 2 shown]
	v_add_f16_e32 v2, v50, v109
	v_add_f16_e32 v61, v50, v113
	;; [unrolled: 1-line block ×110, first 2 shown]
	v_pack_b32_f16 v7, v7, v41
	v_pack_b32_f16 v40, v42, v40
	;; [unrolled: 1-line block ×11, first 2 shown]
	global_store_dword v[10:11], v7, off offset:336
	global_store_dword v[10:11], v14, off offset:672
	;; [unrolled: 1-line block ×9, first 2 shown]
	global_store_dword v[10:11], v0, off
	global_store_dword v[12:13], v2, off offset:1312
	s_and_b32 exec_lo, exec_lo, s0
	s_cbranch_execz .LBB0_32
; %bb.31:
	v_subrev_nc_u32_e32 v0, 40, v8
	v_cndmask_b32_e64 v0, v0, v16, s0
	v_mul_i32_i24_e32 v8, 10, v0
	v_lshlrev_b64 v[0:1], 2, v[8:9]
	v_add_co_u32 v0, vcc_lo, s8, v0
	v_add_co_ci_u32_e32 v1, vcc_lo, s9, v1, vcc_lo
	s_clause 0x2
	global_load_dwordx4 v[40:43], v[0:1], off offset:328
	global_load_dwordx4 v[44:47], v[0:1], off offset:344
	global_load_dwordx2 v[14:15], v[0:1], off offset:360
	s_waitcnt vmcnt(2)
	v_mul_f16_sdwa v16, v38, v40 dst_sel:DWORD dst_unused:UNUSED_PAD src0_sel:DWORD src1_sel:WORD_1
	v_mul_f16_sdwa v2, v28, v40 dst_sel:DWORD dst_unused:UNUSED_PAD src0_sel:DWORD src1_sel:WORD_1
	;; [unrolled: 1-line block ×4, first 2 shown]
	s_waitcnt vmcnt(0)
	v_mul_f16_sdwa v1, v31, v14 dst_sel:DWORD dst_unused:UNUSED_PAD src0_sel:DWORD src1_sel:WORD_1
	v_mul_f16_sdwa v54, v27, v14 dst_sel:DWORD dst_unused:UNUSED_PAD src0_sel:DWORD src1_sel:WORD_1
	;; [unrolled: 1-line block ×4, first 2 shown]
	v_fmac_f16_e32 v16, v28, v40
	v_fma_f16 v28, v38, v40, -v2
	v_mul_f16_sdwa v48, v30, v42 dst_sel:DWORD dst_unused:UNUSED_PAD src0_sel:DWORD src1_sel:WORD_1
	v_mul_f16_sdwa v6, v21, v42 dst_sel:DWORD dst_unused:UNUSED_PAD src0_sel:DWORD src1_sel:WORD_1
	v_fmac_f16_e32 v32, v29, v41
	v_fma_f16 v29, v39, v41, -v4
	v_fmac_f16_e32 v1, v27, v14
	v_fmac_f16_e32 v0, v17, v15
	v_fma_f16 v2, v18, v15, -v55
	v_fma_f16 v4, v31, v14, -v54
	v_add_f16_e32 v14, v19, v16
	v_add_f16_e32 v15, v20, v28
	v_mul_f16_sdwa v49, v33, v43 dst_sel:DWORD dst_unused:UNUSED_PAD src0_sel:DWORD src1_sel:WORD_1
	v_mul_f16_sdwa v8, v22, v43 dst_sel:DWORD dst_unused:UNUSED_PAD src0_sel:DWORD src1_sel:WORD_1
	;; [unrolled: 1-line block ×9, first 2 shown]
	v_fmac_f16_e32 v48, v21, v42
	v_fma_f16 v21, v30, v42, -v6
	v_add_f16_e32 v14, v14, v32
	v_add_f16_e32 v15, v15, v29
	v_mul_f16_sdwa v3, v37, v47 dst_sel:DWORD dst_unused:UNUSED_PAD src0_sel:DWORD src1_sel:WORD_1
	v_fmac_f16_e32 v49, v22, v43
	v_fma_f16 v22, v33, v43, -v8
	v_fmac_f16_e32 v9, v23, v44
	v_fma_f16 v23, v34, v44, -v50
	;; [unrolled: 2-line block ×4, first 2 shown]
	v_fma_f16 v6, v37, v47, -v53
	v_add_f16_e32 v18, v28, v2
	v_sub_f16_e32 v25, v28, v2
	v_add_f16_e32 v14, v14, v48
	v_add_f16_e32 v15, v15, v21
	v_fmac_f16_e32 v3, v26, v47
	v_add_f16_e32 v17, v16, v0
	v_sub_f16_e32 v16, v16, v0
	v_add_f16_e32 v26, v32, v1
	v_add_f16_e32 v27, v29, v4
	v_sub_f16_e32 v28, v32, v1
	v_sub_f16_e32 v30, v29, v4
	v_add_f16_e32 v33, v21, v6
	v_sub_f16_e32 v35, v21, v6
	v_add_f16_e32 v37, v22, v8
	;; [unrolled: 2-line block ×3, first 2 shown]
	v_sub_f16_e32 v43, v23, v24
	v_mul_f16_e32 v29, 0xb853, v25
	v_mul_f16_e32 v32, 0x3abb, v18
	v_mul_f16_e32 v44, 0xbb47, v25
	v_mul_f16_e32 v45, 0x36a6, v18
	v_mul_f16_e32 v46, 0xbbeb, v25
	v_mul_f16_e32 v47, 0xb08e, v18
	v_mul_f16_e32 v50, 0xba0c, v25
	v_mul_f16_e32 v51, 0xb93d, v18
	v_mul_f16_e32 v25, 0xb482, v25
	v_mul_f16_e32 v18, 0xbbad, v18
	v_add_f16_e32 v14, v14, v49
	v_add_f16_e32 v15, v15, v22
	v_add_f16_e32 v31, v48, v3
	v_sub_f16_e32 v34, v48, v3
	v_add_f16_e32 v36, v49, v5
	v_sub_f16_e32 v38, v49, v5
	v_add_f16_e32 v40, v9, v7
	v_sub_f16_e32 v42, v9, v7
	v_mul_f16_e32 v52, 0xbb47, v30
	v_mul_f16_e32 v53, 0x36a6, v27
	v_mul_f16_e32 v54, 0xba0c, v30
	v_mul_f16_e32 v55, 0xb93d, v27
	v_mul_f16_e32 v56, 0x3482, v30
	v_mul_f16_e32 v57, 0xbbad, v27
	v_mul_f16_e32 v58, 0x3beb, v30
	v_mul_f16_e32 v59, 0xb08e, v27
	v_mul_f16_e32 v30, 0x3853, v30
	v_mul_f16_e32 v27, 0x3abb, v27
	v_mul_f16_e32 v60, 0xbbeb, v35
	v_mul_f16_e32 v61, 0xb08e, v33
	v_mul_f16_e32 v62, 0x3482, v35
	v_mul_f16_e32 v63, 0xbbad, v33
	v_mul_f16_e32 v64, 0x3b47, v35
	v_mul_f16_e32 v65, 0x36a6, v33
	v_mul_f16_e32 v66, 0xb853, v35
	v_mul_f16_e32 v67, 0x3abb, v33
	v_mul_f16_e32 v35, 0xba0c, v35
	v_mul_f16_e32 v33, 0xb93d, v33
	v_mul_f16_e32 v68, 0xba0c, v39
	v_mul_f16_e32 v69, 0xb93d, v37
	v_mul_f16_e32 v70, 0x3beb, v39
	v_mul_f16_e32 v71, 0xb08e, v37
	v_mul_f16_e32 v72, 0xb853, v39
	v_mul_f16_e32 v73, 0x3abb, v37
	v_mul_f16_e32 v74, 0xb482, v39
	v_mul_f16_e32 v75, 0xbbad, v37
	v_mul_f16_e32 v39, 0x3b47, v39
	v_mul_f16_e32 v37, 0x36a6, v37
	v_mul_f16_e32 v76, 0xb482, v43
	v_mul_f16_e32 v77, 0xbbad, v41
	v_mul_f16_e32 v78, 0x3853, v43
	v_mul_f16_e32 v79, 0x3abb, v41
	v_mul_f16_e32 v80, 0xba0c, v43
	v_mul_f16_e32 v81, 0xb93d, v41
	v_mul_f16_e32 v82, 0x3b47, v43
	v_mul_f16_e32 v83, 0x36a6, v41
	v_mul_f16_e32 v43, 0xbbeb, v43
	v_mul_f16_e32 v41, 0xb08e, v41
	v_fmamk_f16 v21, v17, 0x3abb, v29
	v_fmamk_f16 v48, v16, 0x3853, v32
	v_fma_f16 v29, v17, 0x3abb, -v29
	v_fmac_f16_e32 v32, 0xb853, v16
	v_fmamk_f16 v84, v17, 0x36a6, v44
	v_fmamk_f16 v85, v16, 0x3b47, v45
	v_fma_f16 v44, v17, 0x36a6, -v44
	v_fmamk_f16 v86, v17, 0xb08e, v46
	v_fma_f16 v46, v17, 0xb08e, -v46
	;; [unrolled: 2-line block ×3, first 2 shown]
	v_fmamk_f16 v90, v17, 0xbbad, v25
	v_fmamk_f16 v91, v16, 0x3482, v18
	v_fma_f16 v17, v17, 0xbbad, -v25
	v_fmac_f16_e32 v18, 0xb482, v16
	v_fmac_f16_e32 v45, 0xbb47, v16
	v_fmamk_f16 v87, v16, 0x3beb, v47
	v_fmac_f16_e32 v47, 0xbbeb, v16
	v_fmamk_f16 v89, v16, 0x3a0c, v51
	v_fmac_f16_e32 v51, 0xba0c, v16
	v_add_f16_e32 v9, v14, v9
	v_add_f16_e32 v14, v15, v23
	v_fmamk_f16 v16, v26, 0x36a6, v52
	v_fmamk_f16 v25, v28, 0x3b47, v53
	v_fma_f16 v52, v26, 0x36a6, -v52
	v_fmac_f16_e32 v53, 0xbb47, v28
	v_fmamk_f16 v92, v26, 0xb93d, v54
	v_fmamk_f16 v93, v28, 0x3a0c, v55
	v_fma_f16 v54, v26, 0xb93d, -v54
	v_fmac_f16_e32 v55, 0xba0c, v28
	;; [unrolled: 4-line block ×20, first 2 shown]
	v_add_f16_e32 v21, v19, v21
	v_add_f16_e32 v22, v20, v48
	;; [unrolled: 1-line block ×110, first 2 shown]
	v_pack_b32_f16 v4, v6, v7
	v_pack_b32_f16 v5, v14, v15
	;; [unrolled: 1-line block ×11, first 2 shown]
	global_store_dword v[10:11], v4, off offset:512
	global_store_dword v[10:11], v5, off offset:848
	;; [unrolled: 1-line block ×11, first 2 shown]
.LBB0_32:
	s_endpgm
	.section	.rodata,"a",@progbits
	.p2align	6, 0x0
	.amdhsa_kernel fft_rtc_back_len924_factors_2_2_3_7_11_wgs_44_tpt_44_halfLds_half_ip_CI_unitstride_sbrr_dirReg
		.amdhsa_group_segment_fixed_size 0
		.amdhsa_private_segment_fixed_size 0
		.amdhsa_kernarg_size 88
		.amdhsa_user_sgpr_count 6
		.amdhsa_user_sgpr_private_segment_buffer 1
		.amdhsa_user_sgpr_dispatch_ptr 0
		.amdhsa_user_sgpr_queue_ptr 0
		.amdhsa_user_sgpr_kernarg_segment_ptr 1
		.amdhsa_user_sgpr_dispatch_id 0
		.amdhsa_user_sgpr_flat_scratch_init 0
		.amdhsa_user_sgpr_private_segment_size 0
		.amdhsa_wavefront_size32 1
		.amdhsa_uses_dynamic_stack 0
		.amdhsa_system_sgpr_private_segment_wavefront_offset 0
		.amdhsa_system_sgpr_workgroup_id_x 1
		.amdhsa_system_sgpr_workgroup_id_y 0
		.amdhsa_system_sgpr_workgroup_id_z 0
		.amdhsa_system_sgpr_workgroup_info 0
		.amdhsa_system_vgpr_workitem_id 0
		.amdhsa_next_free_vgpr 150
		.amdhsa_next_free_sgpr 21
		.amdhsa_reserve_vcc 1
		.amdhsa_reserve_flat_scratch 0
		.amdhsa_float_round_mode_32 0
		.amdhsa_float_round_mode_16_64 0
		.amdhsa_float_denorm_mode_32 3
		.amdhsa_float_denorm_mode_16_64 3
		.amdhsa_dx10_clamp 1
		.amdhsa_ieee_mode 1
		.amdhsa_fp16_overflow 0
		.amdhsa_workgroup_processor_mode 1
		.amdhsa_memory_ordered 1
		.amdhsa_forward_progress 0
		.amdhsa_shared_vgpr_count 0
		.amdhsa_exception_fp_ieee_invalid_op 0
		.amdhsa_exception_fp_denorm_src 0
		.amdhsa_exception_fp_ieee_div_zero 0
		.amdhsa_exception_fp_ieee_overflow 0
		.amdhsa_exception_fp_ieee_underflow 0
		.amdhsa_exception_fp_ieee_inexact 0
		.amdhsa_exception_int_div_zero 0
	.end_amdhsa_kernel
	.text
.Lfunc_end0:
	.size	fft_rtc_back_len924_factors_2_2_3_7_11_wgs_44_tpt_44_halfLds_half_ip_CI_unitstride_sbrr_dirReg, .Lfunc_end0-fft_rtc_back_len924_factors_2_2_3_7_11_wgs_44_tpt_44_halfLds_half_ip_CI_unitstride_sbrr_dirReg
                                        ; -- End function
	.section	.AMDGPU.csdata,"",@progbits
; Kernel info:
; codeLenInByte = 14144
; NumSgprs: 23
; NumVgprs: 150
; ScratchSize: 0
; MemoryBound: 0
; FloatMode: 240
; IeeeMode: 1
; LDSByteSize: 0 bytes/workgroup (compile time only)
; SGPRBlocks: 2
; VGPRBlocks: 18
; NumSGPRsForWavesPerEU: 23
; NumVGPRsForWavesPerEU: 150
; Occupancy: 6
; WaveLimiterHint : 1
; COMPUTE_PGM_RSRC2:SCRATCH_EN: 0
; COMPUTE_PGM_RSRC2:USER_SGPR: 6
; COMPUTE_PGM_RSRC2:TRAP_HANDLER: 0
; COMPUTE_PGM_RSRC2:TGID_X_EN: 1
; COMPUTE_PGM_RSRC2:TGID_Y_EN: 0
; COMPUTE_PGM_RSRC2:TGID_Z_EN: 0
; COMPUTE_PGM_RSRC2:TIDIG_COMP_CNT: 0
	.text
	.p2alignl 6, 3214868480
	.fill 48, 4, 3214868480
	.type	__hip_cuid_ad0a513ef6cad368,@object ; @__hip_cuid_ad0a513ef6cad368
	.section	.bss,"aw",@nobits
	.globl	__hip_cuid_ad0a513ef6cad368
__hip_cuid_ad0a513ef6cad368:
	.byte	0                               ; 0x0
	.size	__hip_cuid_ad0a513ef6cad368, 1

	.ident	"AMD clang version 19.0.0git (https://github.com/RadeonOpenCompute/llvm-project roc-6.4.0 25133 c7fe45cf4b819c5991fe208aaa96edf142730f1d)"
	.section	".note.GNU-stack","",@progbits
	.addrsig
	.addrsig_sym __hip_cuid_ad0a513ef6cad368
	.amdgpu_metadata
---
amdhsa.kernels:
  - .args:
      - .actual_access:  read_only
        .address_space:  global
        .offset:         0
        .size:           8
        .value_kind:     global_buffer
      - .offset:         8
        .size:           8
        .value_kind:     by_value
      - .actual_access:  read_only
        .address_space:  global
        .offset:         16
        .size:           8
        .value_kind:     global_buffer
      - .actual_access:  read_only
        .address_space:  global
        .offset:         24
        .size:           8
        .value_kind:     global_buffer
      - .offset:         32
        .size:           8
        .value_kind:     by_value
      - .actual_access:  read_only
        .address_space:  global
        .offset:         40
        .size:           8
        .value_kind:     global_buffer
      - .actual_access:  read_only
        .address_space:  global
        .offset:         48
        .size:           8
        .value_kind:     global_buffer
      - .offset:         56
        .size:           4
        .value_kind:     by_value
      - .actual_access:  read_only
        .address_space:  global
        .offset:         64
        .size:           8
        .value_kind:     global_buffer
      - .actual_access:  read_only
        .address_space:  global
        .offset:         72
        .size:           8
        .value_kind:     global_buffer
      - .address_space:  global
        .offset:         80
        .size:           8
        .value_kind:     global_buffer
    .group_segment_fixed_size: 0
    .kernarg_segment_align: 8
    .kernarg_segment_size: 88
    .language:       OpenCL C
    .language_version:
      - 2
      - 0
    .max_flat_workgroup_size: 44
    .name:           fft_rtc_back_len924_factors_2_2_3_7_11_wgs_44_tpt_44_halfLds_half_ip_CI_unitstride_sbrr_dirReg
    .private_segment_fixed_size: 0
    .sgpr_count:     23
    .sgpr_spill_count: 0
    .symbol:         fft_rtc_back_len924_factors_2_2_3_7_11_wgs_44_tpt_44_halfLds_half_ip_CI_unitstride_sbrr_dirReg.kd
    .uniform_work_group_size: 1
    .uses_dynamic_stack: false
    .vgpr_count:     150
    .vgpr_spill_count: 0
    .wavefront_size: 32
    .workgroup_processor_mode: 1
amdhsa.target:   amdgcn-amd-amdhsa--gfx1030
amdhsa.version:
  - 1
  - 2
...

	.end_amdgpu_metadata
